;; amdgpu-corpus repo=ROCm/rocFFT kind=compiled arch=gfx906 opt=O3
	.text
	.amdgcn_target "amdgcn-amd-amdhsa--gfx906"
	.amdhsa_code_object_version 6
	.protected	fft_rtc_fwd_len1694_factors_11_2_11_7_wgs_154_tpt_154_halfLds_dp_op_CI_CI_unitstride_sbrr_dirReg ; -- Begin function fft_rtc_fwd_len1694_factors_11_2_11_7_wgs_154_tpt_154_halfLds_dp_op_CI_CI_unitstride_sbrr_dirReg
	.globl	fft_rtc_fwd_len1694_factors_11_2_11_7_wgs_154_tpt_154_halfLds_dp_op_CI_CI_unitstride_sbrr_dirReg
	.p2align	8
	.type	fft_rtc_fwd_len1694_factors_11_2_11_7_wgs_154_tpt_154_halfLds_dp_op_CI_CI_unitstride_sbrr_dirReg,@function
fft_rtc_fwd_len1694_factors_11_2_11_7_wgs_154_tpt_154_halfLds_dp_op_CI_CI_unitstride_sbrr_dirReg: ; @fft_rtc_fwd_len1694_factors_11_2_11_7_wgs_154_tpt_154_halfLds_dp_op_CI_CI_unitstride_sbrr_dirReg
; %bb.0:
	s_load_dwordx4 s[12:15], s[4:5], 0x58
	s_load_dwordx4 s[8:11], s[4:5], 0x0
	;; [unrolled: 1-line block ×3, first 2 shown]
	v_mul_u32_u24_e32 v1, 0x1aa, v0
	v_add_u32_sdwa v6, s6, v1 dst_sel:DWORD dst_unused:UNUSED_PAD src0_sel:DWORD src1_sel:WORD_1
	v_mov_b32_e32 v1, 0
	s_waitcnt lgkmcnt(0)
	v_cmp_lt_u64_e64 s[0:1], s[10:11], 2
	v_mov_b32_e32 v4, 0
	v_mov_b32_e32 v7, v1
	s_and_b64 vcc, exec, s[0:1]
	v_mov_b32_e32 v5, 0
	s_cbranch_vccnz .LBB0_8
; %bb.1:
	s_load_dwordx2 s[0:1], s[4:5], 0x10
	s_add_u32 s2, s18, 8
	s_addc_u32 s3, s19, 0
	s_add_u32 s6, s16, 8
	v_mov_b32_e32 v4, 0
	s_addc_u32 s7, s17, 0
	v_mov_b32_e32 v5, 0
	s_waitcnt lgkmcnt(0)
	s_add_u32 s20, s0, 8
	v_mov_b32_e32 v69, v5
	s_addc_u32 s21, s1, 0
	s_mov_b64 s[22:23], 1
	v_mov_b32_e32 v68, v4
.LBB0_2:                                ; =>This Inner Loop Header: Depth=1
	s_load_dwordx2 s[24:25], s[20:21], 0x0
                                        ; implicit-def: $vgpr70_vgpr71
	s_waitcnt lgkmcnt(0)
	v_or_b32_e32 v2, s25, v7
	v_cmp_ne_u64_e32 vcc, 0, v[1:2]
	s_and_saveexec_b64 s[0:1], vcc
	s_xor_b64 s[26:27], exec, s[0:1]
	s_cbranch_execz .LBB0_4
; %bb.3:                                ;   in Loop: Header=BB0_2 Depth=1
	v_cvt_f32_u32_e32 v2, s24
	v_cvt_f32_u32_e32 v3, s25
	s_sub_u32 s0, 0, s24
	s_subb_u32 s1, 0, s25
	v_mac_f32_e32 v2, 0x4f800000, v3
	v_rcp_f32_e32 v2, v2
	v_mul_f32_e32 v2, 0x5f7ffffc, v2
	v_mul_f32_e32 v3, 0x2f800000, v2
	v_trunc_f32_e32 v3, v3
	v_mac_f32_e32 v2, 0xcf800000, v3
	v_cvt_u32_f32_e32 v3, v3
	v_cvt_u32_f32_e32 v2, v2
	v_mul_lo_u32 v8, s0, v3
	v_mul_hi_u32 v9, s0, v2
	v_mul_lo_u32 v11, s1, v2
	v_mul_lo_u32 v10, s0, v2
	v_add_u32_e32 v8, v9, v8
	v_add_u32_e32 v8, v8, v11
	v_mul_hi_u32 v9, v2, v10
	v_mul_lo_u32 v11, v2, v8
	v_mul_hi_u32 v13, v2, v8
	v_mul_hi_u32 v12, v3, v10
	v_mul_lo_u32 v10, v3, v10
	v_mul_hi_u32 v14, v3, v8
	v_add_co_u32_e32 v9, vcc, v9, v11
	v_addc_co_u32_e32 v11, vcc, 0, v13, vcc
	v_mul_lo_u32 v8, v3, v8
	v_add_co_u32_e32 v9, vcc, v9, v10
	v_addc_co_u32_e32 v9, vcc, v11, v12, vcc
	v_addc_co_u32_e32 v10, vcc, 0, v14, vcc
	v_add_co_u32_e32 v8, vcc, v9, v8
	v_addc_co_u32_e32 v9, vcc, 0, v10, vcc
	v_add_co_u32_e32 v2, vcc, v2, v8
	v_addc_co_u32_e32 v3, vcc, v3, v9, vcc
	v_mul_lo_u32 v8, s0, v3
	v_mul_hi_u32 v9, s0, v2
	v_mul_lo_u32 v10, s1, v2
	v_mul_lo_u32 v11, s0, v2
	v_add_u32_e32 v8, v9, v8
	v_add_u32_e32 v8, v8, v10
	v_mul_lo_u32 v12, v2, v8
	v_mul_hi_u32 v13, v2, v11
	v_mul_hi_u32 v14, v2, v8
	v_mul_hi_u32 v10, v3, v11
	v_mul_lo_u32 v11, v3, v11
	v_mul_hi_u32 v9, v3, v8
	v_add_co_u32_e32 v12, vcc, v13, v12
	v_addc_co_u32_e32 v13, vcc, 0, v14, vcc
	v_mul_lo_u32 v8, v3, v8
	v_add_co_u32_e32 v11, vcc, v12, v11
	v_addc_co_u32_e32 v10, vcc, v13, v10, vcc
	v_addc_co_u32_e32 v9, vcc, 0, v9, vcc
	v_add_co_u32_e32 v8, vcc, v10, v8
	v_addc_co_u32_e32 v9, vcc, 0, v9, vcc
	v_add_co_u32_e32 v8, vcc, v2, v8
	v_addc_co_u32_e32 v9, vcc, v3, v9, vcc
	v_mad_u64_u32 v[2:3], s[0:1], v6, v9, 0
	v_mul_hi_u32 v10, v6, v8
	v_add_co_u32_e32 v10, vcc, v10, v2
	v_addc_co_u32_e32 v11, vcc, 0, v3, vcc
	v_mad_u64_u32 v[2:3], s[0:1], v7, v8, 0
	v_mad_u64_u32 v[8:9], s[0:1], v7, v9, 0
	v_add_co_u32_e32 v2, vcc, v10, v2
	v_addc_co_u32_e32 v2, vcc, v11, v3, vcc
	v_addc_co_u32_e32 v3, vcc, 0, v9, vcc
	v_add_co_u32_e32 v8, vcc, v2, v8
	v_addc_co_u32_e32 v9, vcc, 0, v3, vcc
	v_mul_lo_u32 v10, s25, v8
	v_mul_lo_u32 v11, s24, v9
	v_mad_u64_u32 v[2:3], s[0:1], s24, v8, 0
	v_add3_u32 v3, v3, v11, v10
	v_sub_u32_e32 v10, v7, v3
	v_mov_b32_e32 v11, s25
	v_sub_co_u32_e32 v2, vcc, v6, v2
	v_subb_co_u32_e64 v10, s[0:1], v10, v11, vcc
	v_subrev_co_u32_e64 v11, s[0:1], s24, v2
	v_subbrev_co_u32_e64 v10, s[0:1], 0, v10, s[0:1]
	v_cmp_le_u32_e64 s[0:1], s25, v10
	v_cndmask_b32_e64 v12, 0, -1, s[0:1]
	v_cmp_le_u32_e64 s[0:1], s24, v11
	v_cndmask_b32_e64 v11, 0, -1, s[0:1]
	v_cmp_eq_u32_e64 s[0:1], s25, v10
	v_cndmask_b32_e64 v10, v12, v11, s[0:1]
	v_add_co_u32_e64 v11, s[0:1], 2, v8
	v_addc_co_u32_e64 v12, s[0:1], 0, v9, s[0:1]
	v_add_co_u32_e64 v13, s[0:1], 1, v8
	v_addc_co_u32_e64 v14, s[0:1], 0, v9, s[0:1]
	v_subb_co_u32_e32 v3, vcc, v7, v3, vcc
	v_cmp_ne_u32_e64 s[0:1], 0, v10
	v_cmp_le_u32_e32 vcc, s25, v3
	v_cndmask_b32_e64 v10, v14, v12, s[0:1]
	v_cndmask_b32_e64 v12, 0, -1, vcc
	v_cmp_le_u32_e32 vcc, s24, v2
	v_cndmask_b32_e64 v2, 0, -1, vcc
	v_cmp_eq_u32_e32 vcc, s25, v3
	v_cndmask_b32_e32 v2, v12, v2, vcc
	v_cmp_ne_u32_e32 vcc, 0, v2
	v_cndmask_b32_e64 v2, v13, v11, s[0:1]
	v_cndmask_b32_e32 v71, v9, v10, vcc
	v_cndmask_b32_e32 v70, v8, v2, vcc
.LBB0_4:                                ;   in Loop: Header=BB0_2 Depth=1
	s_andn2_saveexec_b64 s[0:1], s[26:27]
	s_cbranch_execz .LBB0_6
; %bb.5:                                ;   in Loop: Header=BB0_2 Depth=1
	v_cvt_f32_u32_e32 v2, s24
	s_sub_i32 s26, 0, s24
	v_mov_b32_e32 v71, v1
	v_rcp_iflag_f32_e32 v2, v2
	v_mul_f32_e32 v2, 0x4f7ffffe, v2
	v_cvt_u32_f32_e32 v2, v2
	v_mul_lo_u32 v3, s26, v2
	v_mul_hi_u32 v3, v2, v3
	v_add_u32_e32 v2, v2, v3
	v_mul_hi_u32 v2, v6, v2
	v_mul_lo_u32 v3, v2, s24
	v_add_u32_e32 v8, 1, v2
	v_sub_u32_e32 v3, v6, v3
	v_subrev_u32_e32 v9, s24, v3
	v_cmp_le_u32_e32 vcc, s24, v3
	v_cndmask_b32_e32 v3, v3, v9, vcc
	v_cndmask_b32_e32 v2, v2, v8, vcc
	v_add_u32_e32 v8, 1, v2
	v_cmp_le_u32_e32 vcc, s24, v3
	v_cndmask_b32_e32 v70, v2, v8, vcc
.LBB0_6:                                ;   in Loop: Header=BB0_2 Depth=1
	s_or_b64 exec, exec, s[0:1]
	v_mul_lo_u32 v8, v71, s24
	v_mul_lo_u32 v9, v70, s25
	v_mad_u64_u32 v[2:3], s[0:1], v70, s24, 0
	s_load_dwordx2 s[0:1], s[6:7], 0x0
	s_load_dwordx2 s[24:25], s[2:3], 0x0
	v_add3_u32 v3, v3, v9, v8
	v_sub_co_u32_e32 v2, vcc, v6, v2
	v_subb_co_u32_e32 v3, vcc, v7, v3, vcc
	s_waitcnt lgkmcnt(0)
	v_mul_lo_u32 v6, s0, v3
	v_mul_lo_u32 v7, s1, v2
	v_mad_u64_u32 v[4:5], s[0:1], s0, v2, v[4:5]
	v_mul_lo_u32 v3, s24, v3
	v_mul_lo_u32 v8, s25, v2
	v_mad_u64_u32 v[68:69], s[0:1], s24, v2, v[68:69]
	s_add_u32 s22, s22, 1
	s_addc_u32 s23, s23, 0
	s_add_u32 s2, s2, 8
	v_add3_u32 v69, v8, v69, v3
	s_addc_u32 s3, s3, 0
	v_mov_b32_e32 v2, s10
	s_add_u32 s6, s6, 8
	v_mov_b32_e32 v3, s11
	s_addc_u32 s7, s7, 0
	v_cmp_ge_u64_e32 vcc, s[22:23], v[2:3]
	s_add_u32 s20, s20, 8
	v_add3_u32 v5, v7, v5, v6
	s_addc_u32 s21, s21, 0
	s_cbranch_vccnz .LBB0_9
; %bb.7:                                ;   in Loop: Header=BB0_2 Depth=1
	v_mov_b32_e32 v6, v70
	v_mov_b32_e32 v7, v71
	s_branch .LBB0_2
.LBB0_8:
	v_mov_b32_e32 v69, v5
	v_mov_b32_e32 v71, v7
	;; [unrolled: 1-line block ×4, first 2 shown]
.LBB0_9:
	s_load_dwordx2 s[4:5], s[4:5], 0x28
	s_lshl_b64 s[6:7], s[10:11], 3
	s_add_u32 s2, s18, s6
	s_addc_u32 s3, s19, s7
                                        ; implicit-def: $vgpr78
	s_waitcnt lgkmcnt(0)
	v_cmp_gt_u64_e64 s[0:1], s[4:5], v[70:71]
	v_cmp_le_u64_e32 vcc, s[4:5], v[70:71]
	s_and_saveexec_b64 s[4:5], vcc
	s_xor_b64 s[4:5], exec, s[4:5]
; %bb.10:
	s_mov_b32 s10, 0x1a98ef7
	v_mul_hi_u32 v1, v0, s10
                                        ; implicit-def: $vgpr4_vgpr5
	v_mul_u32_u24_e32 v1, 0x9a, v1
	v_sub_u32_e32 v78, v0, v1
                                        ; implicit-def: $vgpr0
; %bb.11:
	s_or_saveexec_b64 s[4:5], s[4:5]
                                        ; implicit-def: $vgpr22_vgpr23
                                        ; implicit-def: $vgpr26_vgpr27
                                        ; implicit-def: $vgpr30_vgpr31
                                        ; implicit-def: $vgpr18_vgpr19
                                        ; implicit-def: $vgpr6_vgpr7
                                        ; implicit-def: $vgpr2_vgpr3
                                        ; implicit-def: $vgpr14_vgpr15
                                        ; implicit-def: $vgpr38_vgpr39
                                        ; implicit-def: $vgpr42_vgpr43
                                        ; implicit-def: $vgpr34_vgpr35
                                        ; implicit-def: $vgpr10_vgpr11
	s_xor_b64 exec, exec, s[4:5]
	s_cbranch_execz .LBB0_13
; %bb.12:
	s_add_u32 s6, s16, s6
	s_addc_u32 s7, s17, s7
	s_load_dwordx2 s[6:7], s[6:7], 0x0
	s_mov_b32 s10, 0x1a98ef7
	v_mul_hi_u32 v3, v0, s10
	s_waitcnt lgkmcnt(0)
	v_mul_lo_u32 v6, s7, v70
	v_mul_lo_u32 v7, s6, v71
	v_mad_u64_u32 v[1:2], s[6:7], s6, v70, 0
	v_mul_u32_u24_e32 v3, 0x9a, v3
	v_sub_u32_e32 v78, v0, v3
	v_add3_u32 v2, v2, v7, v6
	v_lshlrev_b64 v[0:1], 4, v[1:2]
	v_mov_b32_e32 v2, s13
	v_add_co_u32_e32 v3, vcc, s12, v0
	v_addc_co_u32_e32 v2, vcc, v2, v1, vcc
	v_lshlrev_b64 v[0:1], 4, v[4:5]
	s_movk_i32 s6, 0x1000
	v_add_co_u32_e32 v0, vcc, v3, v0
	v_addc_co_u32_e32 v1, vcc, v2, v1, vcc
	v_lshlrev_b32_e32 v2, 4, v78
	v_add_co_u32_e32 v0, vcc, v0, v2
	v_addc_co_u32_e32 v1, vcc, 0, v1, vcc
	v_add_co_u32_e32 v44, vcc, s6, v0
	v_addc_co_u32_e32 v45, vcc, 0, v1, vcc
	s_movk_i32 s6, 0x2000
	v_add_co_u32_e32 v46, vcc, s6, v0
	v_addc_co_u32_e32 v47, vcc, 0, v1, vcc
	s_movk_i32 s6, 0x3000
	;; [unrolled: 3-line block ×4, first 2 shown]
	v_add_co_u32_e32 v52, vcc, s6, v0
	v_addc_co_u32_e32 v53, vcc, 0, v1, vcc
	v_add_co_u32_e32 v54, vcc, 0x6000, v0
	global_load_dwordx4 v[8:11], v[0:1], off
	global_load_dwordx4 v[32:35], v[0:1], off offset:2464
	v_addc_co_u32_e32 v55, vcc, 0, v1, vcc
	global_load_dwordx4 v[40:43], v[44:45], off offset:832
	global_load_dwordx4 v[36:39], v[44:45], off offset:3296
	global_load_dwordx4 v[12:15], v[46:47], off offset:1664
	global_load_dwordx4 v[0:3], v[48:49], off offset:32
	global_load_dwordx4 v[4:7], v[48:49], off offset:2496
	global_load_dwordx4 v[16:19], v[50:51], off offset:864
	global_load_dwordx4 v[28:31], v[50:51], off offset:3328
	global_load_dwordx4 v[24:27], v[52:53], off offset:1696
	global_load_dwordx4 v[20:23], v[54:55], off offset:64
.LBB0_13:
	s_or_b64 exec, exec, s[4:5]
	s_waitcnt vmcnt(0)
	v_add_f64 v[46:47], v[20:21], v[32:33]
	s_load_dwordx2 s[4:5], s[2:3], 0x0
	s_mov_b32 s2, 0x8764f0ba
	s_mov_b32 s3, 0x3feaeb8c
	v_add_f64 v[48:49], v[34:35], -v[22:23]
	v_add_f64 v[50:51], v[24:25], v[40:41]
	s_mov_b32 s20, 0xf8bb580b
	s_mov_b32 s6, 0xd9c712b6
	v_mul_f64 v[54:55], v[46:47], s[2:3]
	s_mov_b32 s10, 0x640f44db
	s_mov_b32 s12, 0x7f775887
	;; [unrolled: 1-line block ×10, first 2 shown]
	v_add_f64 v[52:53], v[42:43], -v[26:27]
	v_mul_f64 v[56:57], v[46:47], s[6:7]
	v_mul_f64 v[58:59], v[46:47], s[10:11]
	;; [unrolled: 1-line block ×5, first 2 shown]
	v_fma_f64 v[66:67], v[48:49], s[20:21], v[54:55]
	v_fma_f64 v[54:55], v[48:49], s[26:27], v[54:55]
	s_mov_b32 s16, 0x8eee2c13
	s_mov_b32 s30, 0x43842ef
	;; [unrolled: 1-line block ×16, first 2 shown]
	v_mul_f64 v[64:65], v[50:51], s[12:13]
	v_fma_f64 v[72:73], v[48:49], s[16:17], v[56:57]
	v_fma_f64 v[56:57], v[48:49], s[36:37], v[56:57]
	v_fma_f64 v[74:75], v[48:49], s[30:31], v[58:59]
	v_fma_f64 v[58:59], v[48:49], s[18:19], v[58:59]
	v_fma_f64 v[76:77], v[48:49], s[38:39], v[60:61]
	v_fma_f64 v[60:61], v[48:49], s[22:23], v[60:61]
	v_fma_f64 v[79:80], v[48:49], s[34:35], v[46:47]
	v_fma_f64 v[46:47], v[48:49], s[28:29], v[46:47]
	v_fma_f64 v[48:49], v[52:53], s[16:17], v[62:63]
	v_fma_f64 v[62:63], v[52:53], s[36:37], v[62:63]
	v_add_f64 v[66:67], v[8:9], v[66:67]
	v_add_f64 v[54:55], v[8:9], v[54:55]
	v_mul_f64 v[81:82], v[50:51], s[24:25]
	v_add_f64 v[44:45], v[32:33], v[8:9]
	v_add_f64 v[72:73], v[8:9], v[72:73]
	;; [unrolled: 1-line block ×8, first 2 shown]
	v_fma_f64 v[83:84], v[52:53], s[38:39], v[64:65]
	v_add_f64 v[8:9], v[8:9], v[46:47]
	v_add_f64 v[46:47], v[48:49], v[66:67]
	v_fma_f64 v[48:49], v[52:53], s[22:23], v[64:65]
	v_mul_f64 v[64:65], v[50:51], s[10:11]
	v_add_f64 v[54:55], v[62:63], v[54:55]
	v_add_f64 v[62:63], v[28:29], v[36:37]
	v_fma_f64 v[66:67], v[52:53], s[28:29], v[81:82]
	v_mul_f64 v[50:51], v[50:51], s[2:3]
	v_add_f64 v[72:73], v[83:84], v[72:73]
	v_fma_f64 v[81:82], v[52:53], s[34:35], v[81:82]
	v_add_f64 v[48:49], v[48:49], v[56:57]
	v_fma_f64 v[56:57], v[52:53], s[18:19], v[64:65]
	v_add_f64 v[83:84], v[38:39], -v[30:31]
	v_mul_f64 v[85:86], v[62:63], s[10:11]
	v_add_f64 v[66:67], v[66:67], v[74:75]
	v_fma_f64 v[64:65], v[52:53], s[30:31], v[64:65]
	v_fma_f64 v[74:75], v[52:53], s[26:27], v[50:51]
	v_add_f64 v[44:45], v[40:41], v[44:45]
	v_add_f64 v[58:59], v[81:82], v[58:59]
	v_mul_f64 v[81:82], v[62:63], s[24:25]
	v_add_f64 v[56:57], v[56:57], v[76:77]
	v_fma_f64 v[50:51], v[52:53], s[20:21], v[50:51]
	v_fma_f64 v[52:53], v[83:84], s[30:31], v[85:86]
	;; [unrolled: 1-line block ×3, first 2 shown]
	v_add_f64 v[60:61], v[64:65], v[60:61]
	v_add_f64 v[64:65], v[74:75], v[79:80]
	v_mul_f64 v[74:75], v[62:63], s[6:7]
	v_add_f64 v[44:45], v[36:37], v[44:45]
	v_fma_f64 v[79:80], v[83:84], s[28:29], v[81:82]
	v_fma_f64 v[81:82], v[83:84], s[34:35], v[81:82]
	v_add_f64 v[8:9], v[50:51], v[8:9]
	v_add_f64 v[46:47], v[52:53], v[46:47]
	;; [unrolled: 1-line block ×4, first 2 shown]
	v_mul_f64 v[54:55], v[62:63], s[2:3]
	v_fma_f64 v[76:77], v[83:84], s[36:37], v[74:75]
	v_add_f64 v[44:45], v[12:13], v[44:45]
	v_add_f64 v[72:73], v[79:80], v[72:73]
	;; [unrolled: 1-line block ×3, first 2 shown]
	v_mul_f64 v[62:63], v[62:63], s[12:13]
	v_fma_f64 v[74:75], v[83:84], s[16:17], v[74:75]
	v_add_f64 v[79:80], v[14:15], -v[18:19]
	v_mul_f64 v[81:82], v[52:53], s[12:13]
	v_fma_f64 v[85:86], v[83:84], s[20:21], v[54:55]
	v_add_f64 v[66:67], v[76:77], v[66:67]
	v_fma_f64 v[54:55], v[83:84], s[26:27], v[54:55]
	v_mul_f64 v[76:77], v[52:53], s[10:11]
	v_add_f64 v[44:45], v[0:1], v[44:45]
	v_fma_f64 v[87:88], v[83:84], s[38:39], v[62:63]
	v_fma_f64 v[62:63], v[83:84], s[22:23], v[62:63]
	v_add_f64 v[58:59], v[74:75], v[58:59]
	v_fma_f64 v[74:75], v[79:80], s[38:39], v[81:82]
	v_fma_f64 v[81:82], v[79:80], s[22:23], v[81:82]
	v_add_f64 v[54:55], v[54:55], v[60:61]
	v_fma_f64 v[60:61], v[79:80], s[18:19], v[76:77]
	v_add_f64 v[44:45], v[4:5], v[44:45]
	v_add_f64 v[64:65], v[87:88], v[64:65]
	;; [unrolled: 1-line block ×3, first 2 shown]
	v_mul_f64 v[62:63], v[52:53], s[2:3]
	v_add_f64 v[46:47], v[74:75], v[46:47]
	v_mul_f64 v[74:75], v[52:53], s[24:25]
	v_mul_f64 v[52:53], v[52:53], s[6:7]
	v_add_f64 v[60:61], v[60:61], v[72:73]
	v_fma_f64 v[72:73], v[79:80], s[30:31], v[76:77]
	v_add_f64 v[50:51], v[81:82], v[50:51]
	v_add_f64 v[81:82], v[4:5], v[0:1]
	v_add_f64 v[44:45], v[16:17], v[44:45]
	v_add_f64 v[56:57], v[85:86], v[56:57]
	v_fma_f64 v[83:84], v[79:80], s[34:35], v[74:75]
	v_fma_f64 v[74:75], v[79:80], s[28:29], v[74:75]
	;; [unrolled: 1-line block ×3, first 2 shown]
	v_add_f64 v[48:49], v[72:73], v[48:49]
	v_fma_f64 v[72:73], v[79:80], s[36:37], v[52:53]
	v_fma_f64 v[62:63], v[79:80], s[26:27], v[62:63]
	v_add_f64 v[85:86], v[2:3], -v[6:7]
	v_mul_f64 v[87:88], v[81:82], s[24:25]
	v_fma_f64 v[52:53], v[79:80], s[16:17], v[52:53]
	v_add_f64 v[44:45], v[28:29], v[44:45]
	v_add_f64 v[54:55], v[74:75], v[54:55]
	v_mul_f64 v[74:75], v[81:82], s[2:3]
	v_add_f64 v[64:65], v[72:73], v[64:65]
	v_mul_f64 v[72:73], v[81:82], s[12:13]
	v_add_f64 v[66:67], v[76:77], v[66:67]
	v_add_f64 v[58:59], v[62:63], v[58:59]
	v_fma_f64 v[62:63], v[85:86], s[34:35], v[87:88]
	v_mul_f64 v[76:77], v[81:82], s[6:7]
	v_add_f64 v[8:9], v[52:53], v[8:9]
	v_mul_f64 v[52:53], v[81:82], s[10:11]
	v_add_f64 v[44:45], v[24:25], v[44:45]
	v_fma_f64 v[79:80], v[85:86], s[26:27], v[74:75]
	v_fma_f64 v[81:82], v[85:86], s[38:39], v[72:73]
	v_add_f64 v[56:57], v[83:84], v[56:57]
	v_add_f64 v[46:47], v[62:63], v[46:47]
	v_fma_f64 v[62:63], v[85:86], s[28:29], v[87:88]
	v_fma_f64 v[83:84], v[85:86], s[36:37], v[76:77]
	;; [unrolled: 1-line block ×7, first 2 shown]
	v_add_f64 v[44:45], v[20:21], v[44:45]
	v_add_f64 v[60:61], v[79:80], v[60:61]
	;; [unrolled: 1-line block ×10, first 2 shown]
	s_movk_i32 s33, 0x58
	v_mad_u32_u24 v8, v78, s33, 0
	s_movk_i32 s33, 0xffb0
	v_mad_i32_i24 v79, v78, s33, v8
	ds_write2_b64 v8, v[44:45], v[46:47] offset1:1
	ds_write2_b64 v8, v[60:61], v[66:67] offset0:2 offset1:3
	ds_write2_b64 v8, v[56:57], v[64:65] offset0:4 offset1:5
	;; [unrolled: 1-line block ×4, first 2 shown]
	ds_write_b64 v8, v[72:73] offset:80
	v_add_u32_e32 v64, 0x1300, v79
	v_add_u32_e32 v65, 0x1e00, v79
	;; [unrolled: 1-line block ×4, first 2 shown]
	s_waitcnt lgkmcnt(0)
	s_barrier
	ds_read2_b64 v[56:59], v79 offset1:154
	ds_read2_b64 v[48:51], v64 offset0:8 offset1:239
	ds_read2_b64 v[44:47], v65 offset0:41 offset1:195
	;; [unrolled: 1-line block ×4, first 2 shown]
	s_movk_i32 s33, 0x4d
	v_cmp_gt_u32_e32 vcc, s33, v78
                                        ; implicit-def: $vgpr74_vgpr75
	s_and_saveexec_b64 s[38:39], vcc
	s_cbranch_execz .LBB0_15
; %bb.14:
	ds_read_b64 v[72:73], v79 offset:6160
	ds_read_b64 v[74:75], v79 offset:12936
.LBB0_15:
	s_or_b64 exec, exec, s[38:39]
	v_add_f64 v[76:77], v[34:35], v[10:11]
	v_add_f64 v[28:29], v[36:37], -v[28:29]
	v_add_f64 v[20:21], v[32:33], -v[20:21]
	v_add_f64 v[32:33], v[22:23], v[34:35]
	v_add_f64 v[34:35], v[26:27], v[42:43]
	v_add_f64 v[24:25], v[40:41], -v[24:25]
	v_add_f64 v[40:41], v[30:31], v[38:39]
	v_add_f64 v[0:1], v[0:1], -v[4:5]
	v_add_f64 v[36:37], v[42:43], v[76:77]
	v_mul_f64 v[90:91], v[28:29], s[18:19]
	v_mul_f64 v[42:43], v[20:21], s[26:27]
	;; [unrolled: 1-line block ×7, first 2 shown]
	v_add_f64 v[36:37], v[38:39], v[36:37]
	v_mul_f64 v[86:87], v[24:25], s[22:23]
	v_mul_f64 v[88:89], v[24:25], s[34:35]
	v_fma_f64 v[96:97], v[32:33], s[2:3], v[42:43]
	v_fma_f64 v[42:43], v[32:33], s[2:3], -v[42:43]
	v_fma_f64 v[98:99], v[32:33], s[6:7], v[76:77]
	v_fma_f64 v[76:77], v[32:33], s[6:7], -v[76:77]
	v_fma_f64 v[100:101], v[32:33], s[10:11], v[80:81]
	v_add_f64 v[36:37], v[14:15], v[36:37]
	v_mul_f64 v[38:39], v[24:25], s[30:31]
	v_mul_f64 v[24:25], v[24:25], s[20:21]
	;; [unrolled: 1-line block ×4, first 2 shown]
	v_fma_f64 v[80:81], v[32:33], s[10:11], -v[80:81]
	v_fma_f64 v[102:103], v[32:33], s[12:13], v[82:83]
	v_fma_f64 v[82:83], v[32:33], s[12:13], -v[82:83]
	v_add_f64 v[36:37], v[2:3], v[36:37]
	v_fma_f64 v[104:105], v[32:33], s[24:25], v[20:21]
	v_fma_f64 v[20:21], v[32:33], s[24:25], -v[20:21]
	v_fma_f64 v[32:33], v[34:35], s[6:7], v[84:85]
	v_fma_f64 v[84:85], v[34:35], s[6:7], -v[84:85]
	;; [unrolled: 2-line block ×3, first 2 shown]
	v_fma_f64 v[108:109], v[34:35], s[24:25], v[88:89]
	v_add_f64 v[36:37], v[6:7], v[36:37]
	v_add_f64 v[96:97], v[10:11], v[96:97]
	;; [unrolled: 1-line block ×6, first 2 shown]
	v_fma_f64 v[88:89], v[34:35], s[24:25], -v[88:89]
	v_fma_f64 v[110:111], v[34:35], s[10:11], v[38:39]
	v_add_f64 v[36:37], v[18:19], v[36:37]
	v_fma_f64 v[38:39], v[34:35], s[10:11], -v[38:39]
	v_fma_f64 v[112:113], v[34:35], s[2:3], v[24:25]
	v_fma_f64 v[24:25], v[34:35], s[2:3], -v[24:25]
	v_fma_f64 v[34:35], v[40:41], s[10:11], v[90:91]
	;; [unrolled: 2-line block ×3, first 2 shown]
	v_add_f64 v[80:81], v[10:11], v[80:81]
	v_add_f64 v[30:31], v[30:31], v[36:37]
	v_add_f64 v[36:37], v[10:11], v[102:103]
	v_add_f64 v[82:83], v[10:11], v[82:83]
	v_add_f64 v[102:103], v[10:11], v[104:105]
	v_add_f64 v[9:10], v[10:11], v[20:21]
	v_add_f64 v[20:21], v[32:33], v[96:97]
	v_add_f64 v[32:33], v[84:85], v[42:43]
	v_add_f64 v[42:43], v[106:107], v[98:99]
	v_add_f64 v[26:27], v[26:27], v[30:31]
	v_add_f64 v[30:31], v[86:87], v[76:77]
	v_add_f64 v[76:77], v[108:109], v[100:101]
	v_add_f64 v[11:12], v[12:13], -v[16:17]
	v_mul_f64 v[16:17], v[28:29], s[26:27]
	v_mul_f64 v[28:29], v[28:29], s[22:23]
	v_add_f64 v[80:81], v[88:89], v[80:81]
	v_add_f64 v[36:37], v[110:111], v[36:37]
	;; [unrolled: 1-line block ×3, first 2 shown]
	v_fma_f64 v[26:27], v[40:41], s[6:7], v[94:95]
	v_add_f64 v[9:10], v[24:25], v[9:10]
	v_add_f64 v[20:21], v[34:35], v[20:21]
	;; [unrolled: 1-line block ×4, first 2 shown]
	v_fma_f64 v[34:35], v[40:41], s[6:7], -v[94:95]
	v_add_f64 v[13:14], v[18:19], v[14:15]
	v_mul_f64 v[18:19], v[11:12], s[22:23]
	v_fma_f64 v[42:43], v[40:41], s[2:3], v[16:17]
	v_add_f64 v[26:27], v[26:27], v[76:77]
	v_mul_f64 v[76:77], v[11:12], s[30:31]
	v_fma_f64 v[84:85], v[40:41], s[12:13], v[28:29]
	v_fma_f64 v[28:29], v[40:41], s[12:13], -v[28:29]
	v_fma_f64 v[92:93], v[40:41], s[24:25], -v[92:93]
	v_add_f64 v[38:39], v[38:39], v[82:83]
	v_fma_f64 v[15:16], v[40:41], s[2:3], -v[16:17]
	v_add_f64 v[34:35], v[34:35], v[80:81]
	v_fma_f64 v[40:41], v[13:14], s[12:13], v[18:19]
	v_add_f64 v[36:37], v[42:43], v[36:37]
	v_fma_f64 v[17:18], v[13:14], s[12:13], -v[18:19]
	v_fma_f64 v[42:43], v[13:14], s[10:11], v[76:77]
	v_mul_f64 v[80:81], v[11:12], s[26:27]
	v_add_f64 v[9:10], v[28:29], v[9:10]
	v_mul_f64 v[28:29], v[11:12], s[28:29]
	v_add_f64 v[82:83], v[112:113], v[102:103]
	v_add_f64 v[30:31], v[92:93], v[30:31]
	v_fma_f64 v[4:5], v[13:14], s[10:11], -v[76:77]
	v_mul_f64 v[11:12], v[11:12], s[16:17]
	v_add_f64 v[15:16], v[15:16], v[38:39]
	v_add_f64 v[19:20], v[40:41], v[20:21]
	;; [unrolled: 1-line block ×4, first 2 shown]
	v_fma_f64 v[32:33], v[13:14], s[2:3], v[80:81]
	v_fma_f64 v[40:41], v[13:14], s[2:3], -v[80:81]
	v_fma_f64 v[42:43], v[13:14], s[24:25], v[28:29]
	v_fma_f64 v[28:29], v[13:14], s[24:25], -v[28:29]
	v_add_f64 v[2:3], v[6:7], v[2:3]
	v_mul_f64 v[6:7], v[0:1], s[28:29]
	v_add_f64 v[38:39], v[84:85], v[82:83]
	v_add_f64 v[4:5], v[4:5], v[30:31]
	v_fma_f64 v[30:31], v[13:14], s[6:7], v[11:12]
	v_add_f64 v[26:27], v[32:33], v[26:27]
	v_add_f64 v[32:33], v[40:41], v[34:35]
	;; [unrolled: 1-line block ×3, first 2 shown]
	v_fma_f64 v[11:12], v[13:14], s[6:7], -v[11:12]
	v_add_f64 v[13:14], v[28:29], v[15:16]
	v_fma_f64 v[15:16], v[2:3], s[24:25], v[6:7]
	v_fma_f64 v[6:7], v[2:3], s[24:25], -v[6:7]
	v_mul_f64 v[28:29], v[0:1], s[20:21]
	v_mul_f64 v[36:37], v[0:1], s[22:23]
	v_add_f64 v[30:31], v[30:31], v[38:39]
	v_mul_f64 v[38:39], v[0:1], s[16:17]
	v_mul_f64 v[0:1], v[0:1], s[18:19]
	v_add_f64 v[9:10], v[11:12], v[9:10]
	v_add_f64 v[11:12], v[15:16], v[19:20]
	v_add_f64 v[42:43], v[6:7], v[17:18]
	v_fma_f64 v[6:7], v[2:3], s[2:3], v[28:29]
	v_fma_f64 v[15:16], v[2:3], s[2:3], -v[28:29]
	v_fma_f64 v[17:18], v[2:3], s[12:13], v[36:37]
	v_fma_f64 v[19:20], v[2:3], s[6:7], v[38:39]
	v_fma_f64 v[28:29], v[2:3], s[6:7], -v[38:39]
	v_fma_f64 v[38:39], v[2:3], s[10:11], v[0:1]
	v_fma_f64 v[0:1], v[2:3], s[10:11], -v[0:1]
	v_fma_f64 v[2:3], v[2:3], s[12:13], -v[36:37]
	v_add_f64 v[6:7], v[6:7], v[24:25]
	v_add_f64 v[4:5], v[15:16], v[4:5]
	;; [unrolled: 1-line block ×8, first 2 shown]
	s_waitcnt lgkmcnt(0)
	s_barrier
	ds_write2_b64 v8, v[22:23], v[11:12] offset1:1
	ds_write2_b64 v8, v[6:7], v[15:16] offset0:2 offset1:3
	ds_write2_b64 v8, v[17:18], v[19:20] offset0:4 offset1:5
	;; [unrolled: 1-line block ×4, first 2 shown]
	ds_write_b64 v8, v[42:43] offset:80
	s_waitcnt lgkmcnt(0)
	s_barrier
	ds_read2_b64 v[6:9], v79 offset1:154
	ds_read2_b64 v[2:5], v64 offset0:8 offset1:239
	ds_read2_b64 v[14:17], v65 offset0:41 offset1:195
	;; [unrolled: 1-line block ×4, first 2 shown]
                                        ; implicit-def: $vgpr76_vgpr77
	s_and_saveexec_b64 s[2:3], vcc
	s_cbranch_execz .LBB0_17
; %bb.16:
	ds_read_b64 v[42:43], v79 offset:6160
	ds_read_b64 v[76:77], v79 offset:12936
.LBB0_17:
	s_or_b64 exec, exec, s[2:3]
	s_movk_i32 s2, 0x75
	v_mul_lo_u16_sdwa v22, v78, s2 dst_sel:DWORD dst_unused:UNUSED_PAD src0_sel:BYTE_0 src1_sel:DWORD
	v_sub_u16_sdwa v23, v78, v22 dst_sel:DWORD dst_unused:UNUSED_PAD src0_sel:DWORD src1_sel:BYTE_1
	v_lshrrev_b16_e32 v23, 1, v23
	v_and_b32_e32 v23, 0x7f, v23
	v_add_u16_sdwa v22, v23, v22 dst_sel:DWORD dst_unused:UNUSED_PAD src0_sel:DWORD src1_sel:BYTE_1
	v_lshrrev_b16_e32 v94, 3, v22
	v_mul_lo_u16_e32 v22, 11, v94
	v_add_u32_e32 v80, 0x9a, v78
	v_sub_u16_e32 v96, v78, v22
	v_mov_b32_e32 v22, 4
	s_mov_b32 s2, 0xba2f
	v_lshlrev_b32_sdwa v30, v22, v96 dst_sel:DWORD dst_unused:UNUSED_PAD src0_sel:DWORD src1_sel:BYTE_0
	v_mul_u32_u24_sdwa v22, v80, s2 dst_sel:DWORD dst_unused:UNUSED_PAD src0_sel:WORD_0 src1_sel:DWORD
	v_lshrrev_b32_e32 v81, 19, v22
	v_mul_lo_u16_e32 v22, 11, v81
	v_add_u32_e32 v0, 0x134, v78
	v_sub_u16_e32 v82, v80, v22
	v_lshlrev_b32_e32 v31, 4, v82
	global_load_dwordx4 v[22:25], v30, s[8:9]
	global_load_dwordx4 v[26:29], v31, s[8:9]
	v_mul_u32_u24_sdwa v30, v0, s2 dst_sel:DWORD dst_unused:UNUSED_PAD src0_sel:WORD_0 src1_sel:DWORD
	v_lshrrev_b32_e32 v83, 19, v30
	v_add_u32_e32 v1, 0x1ce, v78
	v_mul_lo_u16_e32 v30, 11, v83
	v_sub_u16_e32 v0, v0, v30
	v_mul_u32_u24_sdwa v30, v1, s2 dst_sel:DWORD dst_unused:UNUSED_PAD src0_sel:WORD_0 src1_sel:DWORD
	v_lshrrev_b32_e32 v84, 19, v30
	v_mul_lo_u16_e32 v30, 11, v84
	v_add_u32_e32 v38, 0x268, v78
	v_lshlrev_b32_e32 v39, 4, v0
	v_sub_u16_e32 v1, v1, v30
	v_lshlrev_b32_e32 v40, 4, v1
	global_load_dwordx4 v[30:33], v39, s[8:9]
	global_load_dwordx4 v[34:37], v40, s[8:9]
	v_mul_u32_u24_sdwa v39, v38, s2 dst_sel:DWORD dst_unused:UNUSED_PAD src0_sel:WORD_0 src1_sel:DWORD
	v_lshrrev_b32_e32 v85, 19, v39
	v_mul_lo_u16_e32 v39, 11, v85
	v_sub_u16_e32 v86, v38, v39
	v_add_u32_e32 v64, 0x302, v78
	v_lshlrev_b32_e32 v38, 4, v86
	v_mul_u32_u24_sdwa v65, v64, s2 dst_sel:DWORD dst_unused:UNUSED_PAD src0_sel:WORD_0 src1_sel:DWORD
	global_load_dwordx4 v[38:41], v38, s[8:9]
	v_lshrrev_b32_e32 v87, 19, v65
	v_mul_lo_u16_e32 v65, 11, v87
	v_sub_u16_e32 v98, v64, v65
	v_lshlrev_b32_e32 v64, 4, v98
	global_load_dwordx4 v[64:67], v64, s[8:9]
	v_lshlrev_b32_e32 v95, 3, v0
	v_lshlrev_b32_e32 v99, 3, v1
	v_mul_u32_u24_e32 v88, 0xb0, v81
	v_mul_lo_u16_e32 v81, 22, v87
	v_lshlrev_b32_e32 v82, 3, v82
	v_lshlrev_b32_e32 v100, 3, v86
	v_add3_u32 v82, 0, v88, v82
	v_mul_u32_u24_e32 v83, 0xb0, v83
	v_mul_u32_u24_e32 v84, 0xb0, v84
	v_add3_u32 v83, 0, v83, v95
	v_add3_u32 v84, 0, v84, v99
	v_mul_u32_u24_e32 v99, 0xb0, v94
	v_mov_b32_e32 v97, 3
	v_mul_u32_u24_e32 v85, 0xb0, v85
	v_add3_u32 v85, 0, v85, v100
	v_lshlrev_b32_sdwa v100, v97, v96 dst_sel:DWORD dst_unused:UNUSED_PAD src0_sel:DWORD src1_sel:BYTE_0
	s_waitcnt vmcnt(0) lgkmcnt(0)
	s_barrier
	v_mul_f64 v[0:1], v[4:5], v[24:25]
	v_mul_f64 v[86:87], v[14:15], v[28:29]
	v_fma_f64 v[0:1], v[50:51], v[22:23], -v[0:1]
	v_fma_f64 v[86:87], v[44:45], v[26:27], -v[86:87]
	v_mul_f64 v[88:89], v[16:17], v[32:33]
	v_mul_f64 v[90:91], v[18:19], v[36:37]
	v_add_f64 v[96:97], v[56:57], -v[0:1]
	v_add_f64 v[86:87], v[58:59], -v[86:87]
	v_fma_f64 v[88:89], v[46:47], v[30:31], -v[88:89]
	v_mul_f64 v[92:93], v[20:21], v[40:41]
	v_fma_f64 v[90:91], v[52:53], v[34:35], -v[90:91]
	v_fma_f64 v[56:57], v[56:57], 2.0, -v[96:97]
	v_fma_f64 v[58:59], v[58:59], 2.0, -v[86:87]
	v_mul_f64 v[94:95], v[76:77], v[66:67]
	v_add_f64 v[88:89], v[60:61], -v[88:89]
	v_fma_f64 v[92:93], v[54:55], v[38:39], -v[92:93]
	v_add_f64 v[90:91], v[62:63], -v[90:91]
	v_fma_f64 v[0:1], v[74:75], v[64:65], -v[94:95]
	v_fma_f64 v[60:61], v[60:61], 2.0, -v[88:89]
	v_add_f64 v[92:93], v[48:49], -v[92:93]
	v_fma_f64 v[62:63], v[62:63], 2.0, -v[90:91]
	v_add_f64 v[0:1], v[72:73], -v[0:1]
	v_fma_f64 v[94:95], v[48:49], 2.0, -v[92:93]
	v_add3_u32 v49, 0, v99, v100
	v_lshlrev_b32_e32 v48, 3, v98
	ds_write2_b64 v49, v[56:57], v[96:97] offset1:11
	ds_write2_b64 v82, v[58:59], v[86:87] offset1:11
	;; [unrolled: 1-line block ×5, first 2 shown]
	s_and_saveexec_b64 s[2:3], vcc
	s_cbranch_execz .LBB0_19
; %bb.18:
	v_fma_f64 v[56:57], v[72:73], 2.0, -v[0:1]
	v_lshlrev_b32_e32 v58, 3, v81
	v_add3_u32 v58, 0, v48, v58
	ds_write2_b64 v58, v[56:57], v[0:1] offset1:11
.LBB0_19:
	s_or_b64 exec, exec, s[2:3]
	v_mul_f64 v[24:25], v[50:51], v[24:25]
	v_mul_f64 v[28:29], v[44:45], v[28:29]
	;; [unrolled: 1-line block ×6, first 2 shown]
	s_waitcnt lgkmcnt(0)
	s_barrier
	v_fma_f64 v[4:5], v[4:5], v[22:23], v[24:25]
	v_fma_f64 v[14:15], v[14:15], v[26:27], v[28:29]
	;; [unrolled: 1-line block ×6, first 2 shown]
	v_add_u32_e32 v33, 0x800, v79
	v_add_u32_e32 v34, 0x1c00, v79
	v_add_f64 v[30:31], v[6:7], -v[4:5]
	v_add_f64 v[36:37], v[8:9], -v[14:15]
	v_add_f64 v[38:39], v[10:11], -v[16:17]
	v_add_f64 v[40:41], v[12:13], -v[18:19]
	v_add_f64 v[44:45], v[2:3], -v[20:21]
	v_add_f64 v[4:5], v[42:43], -v[22:23]
	v_add_u32_e32 v35, 0x2400, v79
	v_fma_f64 v[6:7], v[6:7], 2.0, -v[30:31]
	v_fma_f64 v[8:9], v[8:9], 2.0, -v[36:37]
	;; [unrolled: 1-line block ×5, first 2 shown]
	ds_read2_b64 v[10:13], v79 offset1:154
	ds_read2_b64 v[22:25], v33 offset0:52 offset1:206
	ds_read_b64 v[2:3], v79 offset:4928
	v_lshl_add_u32 v32, v78, 3, 0
	ds_read2_b64 v[18:21], v34 offset0:28 offset1:182
	ds_read2_b64 v[14:17], v35 offset0:80 offset1:234
	ds_read_b64 v[28:29], v32 offset:6160
	ds_read_b64 v[26:27], v79 offset:12320
	s_waitcnt lgkmcnt(0)
	s_barrier
	ds_write2_b64 v49, v[6:7], v[30:31] offset1:11
	ds_write2_b64 v82, v[8:9], v[36:37] offset1:11
	;; [unrolled: 1-line block ×5, first 2 shown]
	s_and_saveexec_b64 s[2:3], vcc
	s_cbranch_execz .LBB0_21
; %bb.20:
	v_fma_f64 v[6:7], v[42:43], 2.0, -v[4:5]
	v_lshlrev_b32_e32 v8, 3, v81
	v_add3_u32 v8, 0, v48, v8
	ds_write2_b64 v8, v[6:7], v[4:5] offset1:11
.LBB0_21:
	s_or_b64 exec, exec, s[2:3]
	v_lshrrev_b16_e32 v6, 1, v78
	v_and_b32_e32 v6, 0x7f, v6
	v_mul_lo_u16_e32 v6, 0xbb, v6
	v_lshrrev_b16_e32 v30, 11, v6
	v_mul_lo_u16_e32 v6, 22, v30
	v_sub_u16_e32 v31, v78, v6
	v_mov_b32_e32 v6, 10
	v_mul_u32_u24_sdwa v6, v31, v6 dst_sel:DWORD dst_unused:UNUSED_PAD src0_sel:BYTE_0 src1_sel:DWORD
	v_lshlrev_b32_e32 v6, 4, v6
	s_waitcnt lgkmcnt(0)
	s_barrier
	global_load_dwordx4 v[36:39], v6, s[8:9] offset:176
	global_load_dwordx4 v[40:43], v6, s[8:9] offset:192
	;; [unrolled: 1-line block ×10, first 2 shown]
	ds_read2_b64 v[6:9], v79 offset1:154
	ds_read2_b64 v[93:96], v33 offset0:52 offset1:206
	ds_read_b64 v[64:65], v79 offset:4928
	ds_read2_b64 v[97:100], v34 offset0:28 offset1:182
	ds_read2_b64 v[101:104], v35 offset0:80 offset1:234
	ds_read_b64 v[32:33], v32 offset:6160
	ds_read_b64 v[34:35], v79 offset:12320
	s_mov_b32 s22, 0xf8bb580b
	s_mov_b32 s36, 0x8eee2c13
	;; [unrolled: 1-line block ×26, first 2 shown]
	v_mul_u32_u24_e32 v30, 0x790, v30
	s_waitcnt vmcnt(0) lgkmcnt(0)
	s_barrier
	s_movk_i32 s2, 0x58
	v_cmp_gt_u32_e64 s[2:3], s2, v78
	v_mul_f64 v[56:57], v[8:9], v[38:39]
	v_mul_f64 v[38:39], v[12:13], v[38:39]
	;; [unrolled: 1-line block ×8, first 2 shown]
	v_fma_f64 v[66:67], v[12:13], v[36:37], -v[56:57]
	v_mul_f64 v[12:13], v[26:27], v[76:77]
	v_mul_f64 v[113:114], v[97:98], v[62:63]
	v_mul_f64 v[115:116], v[18:19], v[62:63]
	v_mul_f64 v[121:122], v[103:104], v[91:92]
	v_mul_f64 v[91:92], v[16:17], v[91:92]
	v_fma_f64 v[72:73], v[8:9], v[36:37], v[38:39]
	v_mul_f64 v[8:9], v[34:35], v[76:77]
	v_fma_f64 v[62:63], v[22:23], v[40:41], -v[58:59]
	v_fma_f64 v[58:59], v[24:25], v[44:45], -v[105:106]
	v_fma_f64 v[54:55], v[95:96], v[44:45], v[46:47]
	v_fma_f64 v[44:45], v[34:35], v[74:75], v[12:13]
	v_mul_f64 v[107:108], v[64:65], v[50:51]
	v_mul_f64 v[50:51], v[2:3], v[50:51]
	;; [unrolled: 1-line block ×4, first 2 shown]
	v_fma_f64 v[56:57], v[93:94], v[40:41], v[42:43]
	v_fma_f64 v[74:75], v[26:27], v[74:75], -v[8:9]
	v_fma_f64 v[46:47], v[103:104], v[89:90], v[91:92]
	v_add_f64 v[8:9], v[72:73], -v[44:45]
	v_mul_f64 v[117:118], v[99:100], v[83:84]
	v_mul_f64 v[83:84], v[20:21], v[83:84]
	v_fma_f64 v[42:43], v[2:3], v[48:49], -v[107:108]
	v_fma_f64 v[40:41], v[64:65], v[48:49], v[50:51]
	v_fma_f64 v[64:65], v[16:17], v[89:90], -v[121:122]
	v_fma_f64 v[50:51], v[101:102], v[85:86], v[87:88]
	v_add_f64 v[12:13], v[66:67], v[74:75]
	v_add_f64 v[24:25], v[56:57], -v[46:47]
	v_mul_f64 v[34:35], v[8:9], s[22:23]
	v_mul_f64 v[48:49], v[8:9], s[36:37]
	v_fma_f64 v[36:37], v[28:29], v[52:53], -v[109:110]
	v_fma_f64 v[22:23], v[32:33], v[52:53], v[111:112]
	v_fma_f64 v[38:39], v[18:19], v[60:61], -v[113:114]
	v_fma_f64 v[18:19], v[97:98], v[60:61], v[115:116]
	v_fma_f64 v[20:21], v[20:21], v[81:82], -v[117:118]
	v_fma_f64 v[60:61], v[14:15], v[85:86], -v[119:120]
	v_fma_f64 v[16:17], v[99:100], v[81:82], v[83:84]
	v_add_f64 v[14:15], v[62:63], v[64:65]
	v_add_f64 v[28:29], v[54:55], -v[50:51]
	v_mul_f64 v[52:53], v[8:9], s[16:17]
	v_mul_f64 v[76:77], v[8:9], s[20:21]
	;; [unrolled: 1-line block ×5, first 2 shown]
	v_fma_f64 v[97:98], v[12:13], s[6:7], -v[34:35]
	v_fma_f64 v[99:100], v[12:13], s[10:11], -v[48:49]
	v_fma_f64 v[48:49], v[12:13], s[10:11], v[48:49]
	v_add_f64 v[2:3], v[10:11], v[66:67]
	v_add_f64 v[26:27], v[58:59], v[60:61]
	v_mul_f64 v[85:86], v[24:25], s[38:39]
	v_mul_f64 v[87:88], v[24:25], s[34:35]
	;; [unrolled: 1-line block ×5, first 2 shown]
	v_fma_f64 v[34:35], v[12:13], s[6:7], v[34:35]
	v_fma_f64 v[101:102], v[12:13], s[12:13], -v[52:53]
	v_fma_f64 v[52:53], v[12:13], s[12:13], v[52:53]
	v_fma_f64 v[103:104], v[12:13], s[18:19], -v[76:77]
	;; [unrolled: 2-line block ×4, first 2 shown]
	v_fma_f64 v[107:108], v[14:15], s[18:19], -v[83:84]
	v_fma_f64 v[83:84], v[14:15], s[18:19], v[83:84]
	v_add_f64 v[97:98], v[10:11], v[97:98]
	v_add_f64 v[48:49], v[10:11], v[48:49]
	;; [unrolled: 1-line block ×3, first 2 shown]
	v_add_f64 v[32:33], v[40:41], -v[16:17]
	v_fma_f64 v[81:82], v[14:15], s[10:11], v[81:82]
	v_fma_f64 v[109:110], v[14:15], s[24:25], -v[85:86]
	v_fma_f64 v[85:86], v[14:15], s[24:25], v[85:86]
	v_fma_f64 v[111:112], v[14:15], s[12:13], -v[87:88]
	;; [unrolled: 2-line block ×4, first 2 shown]
	v_fma_f64 v[115:116], v[26:27], s[24:25], -v[91:92]
	v_fma_f64 v[91:92], v[26:27], s[24:25], v[91:92]
	v_add_f64 v[34:35], v[10:11], v[34:35]
	v_add_f64 v[99:100], v[10:11], v[99:100]
	;; [unrolled: 1-line block ×11, first 2 shown]
	v_mul_f64 v[93:94], v[28:29], s[30:31]
	v_mul_f64 v[95:96], v[28:29], s[22:23]
	v_fma_f64 v[89:90], v[26:27], s[12:13], v[89:90]
	v_add_f64 v[12:13], v[81:82], v[34:35]
	v_add_f64 v[34:35], v[107:108], v[99:100]
	;; [unrolled: 1-line block ×5, first 2 shown]
	v_mul_f64 v[28:29], v[28:29], s[20:21]
	v_add_f64 v[48:49], v[42:43], v[20:21]
	v_mul_f64 v[87:88], v[32:33], s[20:21]
	v_add_f64 v[2:3], v[2:3], v[42:43]
	v_fma_f64 v[117:118], v[26:27], s[10:11], -v[93:94]
	v_add_f64 v[52:53], v[85:86], v[52:53]
	v_add_f64 v[83:84], v[111:112], v[103:104]
	;; [unrolled: 1-line block ×5, first 2 shown]
	v_fma_f64 v[34:35], v[26:27], s[10:11], v[93:94]
	v_fma_f64 v[89:90], v[26:27], s[6:7], -v[95:96]
	v_fma_f64 v[91:92], v[26:27], s[6:7], v[95:96]
	v_mul_f64 v[93:94], v[32:33], s[34:35]
	v_fma_f64 v[95:96], v[26:27], s[18:19], -v[28:29]
	v_fma_f64 v[26:27], v[26:27], s[18:19], v[28:29]
	v_fma_f64 v[28:29], v[48:49], s[18:19], -v[87:88]
	v_add_f64 v[2:3], v[2:3], v[36:37]
	v_add_f64 v[85:86], v[113:114], v[105:106]
	;; [unrolled: 1-line block ×4, first 2 shown]
	v_fma_f64 v[83:84], v[48:49], s[18:19], v[87:88]
	v_fma_f64 v[87:88], v[48:49], s[12:13], -v[93:94]
	v_add_f64 v[8:9], v[26:27], v[8:9]
	v_add_f64 v[10:11], v[28:29], v[10:11]
	v_mul_f64 v[26:27], v[32:33], s[26:27]
	v_add_f64 v[28:29], v[22:23], -v[18:19]
	v_add_f64 v[2:3], v[2:3], v[38:39]
	v_add_f64 v[81:82], v[109:110], v[101:102]
	v_mul_f64 v[89:90], v[32:33], s[22:23]
	v_add_f64 v[76:77], v[91:92], v[76:77]
	v_add_f64 v[85:86], v[95:96], v[85:86]
	;; [unrolled: 1-line block ×4, first 2 shown]
	v_fma_f64 v[14:15], v[48:49], s[12:13], v[93:94]
	v_mul_f64 v[32:33], v[32:33], s[30:31]
	v_fma_f64 v[91:92], v[48:49], s[24:25], -v[26:27]
	v_add_f64 v[93:94], v[36:37], v[38:39]
	v_mul_f64 v[95:96], v[28:29], s[26:27]
	v_add_f64 v[2:3], v[2:3], v[20:21]
	v_add_f64 v[81:82], v[117:118], v[81:82]
	v_fma_f64 v[87:88], v[48:49], s[6:7], -v[89:90]
	v_fma_f64 v[89:90], v[48:49], s[6:7], v[89:90]
	v_fma_f64 v[26:27], v[48:49], s[24:25], v[26:27]
	v_add_f64 v[24:25], v[14:15], v[24:25]
	v_fma_f64 v[14:15], v[48:49], s[10:11], -v[32:33]
	v_fma_f64 v[32:33], v[48:49], s[10:11], v[32:33]
	v_add_f64 v[48:49], v[91:92], v[52:53]
	v_fma_f64 v[52:53], v[93:94], s[24:25], -v[95:96]
	v_add_f64 v[2:3], v[2:3], v[60:61]
	v_add_f64 v[81:82], v[87:88], v[81:82]
	;; [unrolled: 1-line block ×4, first 2 shown]
	v_fma_f64 v[76:77], v[93:94], s[24:25], v[95:96]
	v_mul_f64 v[87:88], v[28:29], s[28:29]
	v_mul_f64 v[89:90], v[28:29], s[20:21]
	v_add_f64 v[32:33], v[32:33], v[8:9]
	v_mul_f64 v[8:9], v[28:29], s[30:31]
	v_add_f64 v[52:53], v[52:53], v[10:11]
	;; [unrolled: 2-line block ×3, first 2 shown]
	v_add_f64 v[85:86], v[14:15], v[85:86]
	v_add_f64 v[14:15], v[76:77], v[12:13]
	v_fma_f64 v[12:13], v[93:94], s[6:7], -v[87:88]
	v_fma_f64 v[28:29], v[93:94], s[6:7], v[87:88]
	v_fma_f64 v[76:77], v[93:94], s[18:19], -v[89:90]
	v_fma_f64 v[87:88], v[93:94], s[18:19], v[89:90]
	;; [unrolled: 2-line block ×4, first 2 shown]
	v_add_f64 v[2:3], v[2:3], v[74:75]
	v_add_f64 v[83:84], v[12:13], v[83:84]
	;; [unrolled: 1-line block ×9, first 2 shown]
	v_mov_b32_e32 v34, 3
	v_lshlrev_b32_sdwa v31, v34, v31 dst_sel:DWORD dst_unused:UNUSED_PAD src0_sel:DWORD src1_sel:BYTE_0
	v_add3_u32 v76, 0, v30, v31
	v_add_u32_e32 v77, 0xf00, v79
	v_add_u32_e32 v81, 0x1e00, v79
	ds_write2_b64 v76, v[2:3], v[52:53] offset1:22
	ds_write2_b64 v76, v[83:84], v[24:25] offset0:44 offset1:66
	ds_write2_b64 v76, v[28:29], v[26:27] offset0:88 offset1:110
	;; [unrolled: 1-line block ×4, first 2 shown]
	ds_write_b64 v76, v[14:15] offset:1760
	s_waitcnt lgkmcnt(0)
	s_barrier
	ds_read2_b64 v[24:27], v79 offset1:242
	ds_read2_b64 v[28:31], v77 offset0:4 offset1:246
	ds_read2_b64 v[32:35], v81 offset0:8 offset1:250
	ds_read_b64 v[52:53], v79 offset:11616
                                        ; implicit-def: $vgpr48_vgpr49
	s_and_saveexec_b64 s[40:41], s[2:3]
	s_cbranch_execz .LBB0_23
; %bb.22:
	v_add_u32_e32 v0, 0x480, v79
	ds_read2_b64 v[8:11], v0 offset0:10 offset1:252
	v_add_u32_e32 v0, 0x13c0, v79
	ds_read2_b64 v[12:15], v0 offset0:6 offset1:248
	;; [unrolled: 2-line block ×3, first 2 shown]
	ds_read_b64 v[48:49], v79 offset:12848
.LBB0_23:
	s_or_b64 exec, exec, s[40:41]
	v_add_f64 v[82:83], v[6:7], v[72:73]
	v_add_f64 v[66:67], v[66:67], -v[74:75]
	v_add_f64 v[74:75], v[56:57], v[46:47]
	v_add_f64 v[62:63], v[62:63], -v[64:65]
	v_add_f64 v[64:65], v[54:55], v[50:51]
	v_add_f64 v[72:73], v[72:73], v[44:45]
	v_add_f64 v[58:59], v[58:59], -v[60:61]
	v_add_f64 v[20:21], v[42:43], -v[20:21]
	v_add_f64 v[56:57], v[82:83], v[56:57]
	v_mul_f64 v[60:61], v[66:67], s[22:23]
	v_mul_f64 v[82:83], v[66:67], s[36:37]
	;; [unrolled: 1-line block ×7, first 2 shown]
	v_add_f64 v[54:55], v[56:57], v[54:55]
	v_fma_f64 v[100:101], v[72:73], s[6:7], v[60:61]
	v_fma_f64 v[102:103], v[72:73], s[10:11], v[82:83]
	v_mul_f64 v[92:93], v[62:63], s[38:39]
	v_mul_f64 v[56:57], v[62:63], s[34:35]
	;; [unrolled: 1-line block ×5, first 2 shown]
	v_add_f64 v[54:55], v[54:55], v[40:41]
	v_fma_f64 v[60:61], v[72:73], s[6:7], -v[60:61]
	v_fma_f64 v[82:83], v[72:73], s[10:11], -v[82:83]
	v_fma_f64 v[104:105], v[72:73], s[12:13], v[84:85]
	v_fma_f64 v[84:85], v[72:73], s[12:13], -v[84:85]
	v_fma_f64 v[106:107], v[72:73], s[18:19], v[86:87]
	v_fma_f64 v[86:87], v[72:73], s[18:19], -v[86:87]
	v_fma_f64 v[108:109], v[72:73], s[24:25], v[66:67]
	v_add_f64 v[54:55], v[54:55], v[22:23]
	v_fma_f64 v[66:67], v[72:73], s[24:25], -v[66:67]
	v_fma_f64 v[72:73], v[74:75], s[10:11], v[88:89]
	v_fma_f64 v[110:111], v[74:75], s[18:19], v[90:91]
	v_add_f64 v[100:101], v[6:7], v[100:101]
	v_add_f64 v[102:103], v[6:7], v[102:103]
	v_mul_f64 v[98:99], v[58:59], s[30:31]
	v_fma_f64 v[88:89], v[74:75], s[10:11], -v[88:89]
	v_add_f64 v[54:55], v[54:55], v[18:19]
	v_fma_f64 v[90:91], v[74:75], s[18:19], -v[90:91]
	v_fma_f64 v[112:113], v[74:75], s[24:25], v[92:93]
	v_fma_f64 v[92:93], v[74:75], s[24:25], -v[92:93]
	v_fma_f64 v[114:115], v[74:75], s[12:13], v[56:57]
	;; [unrolled: 2-line block ×3, first 2 shown]
	v_fma_f64 v[62:63], v[74:75], s[6:7], -v[62:63]
	v_add_f64 v[54:55], v[54:55], v[16:17]
	v_fma_f64 v[74:75], v[64:65], s[12:13], v[94:95]
	v_fma_f64 v[118:119], v[64:65], s[24:25], v[96:97]
	v_add_f64 v[60:61], v[6:7], v[60:61]
	v_add_f64 v[82:83], v[6:7], v[82:83]
	v_add_f64 v[104:105], v[6:7], v[104:105]
	v_add_f64 v[84:85], v[6:7], v[84:85]
	v_add_f64 v[86:87], v[6:7], v[86:87]
	v_add_f64 v[50:51], v[54:55], v[50:51]
	v_add_f64 v[54:55], v[6:7], v[106:107]
	v_add_f64 v[106:107], v[6:7], v[108:109]
	v_add_f64 v[6:7], v[6:7], v[66:67]
	v_add_f64 v[66:67], v[72:73], v[100:101]
	v_add_f64 v[72:73], v[110:111], v[102:103]
	v_add_f64 v[84:85], v[92:93], v[84:85]
	v_mul_f64 v[42:43], v[58:59], s[22:23]
	v_add_f64 v[46:47], v[50:51], v[46:47]
	v_add_f64 v[50:51], v[90:91], v[82:83]
	;; [unrolled: 1-line block ×4, first 2 shown]
	v_fma_f64 v[62:63], v[64:65], s[10:11], v[98:99]
	v_mul_f64 v[58:59], v[58:59], s[20:21]
	v_add_f64 v[16:17], v[40:41], v[16:17]
	v_mul_f64 v[40:41], v[20:21], s[20:21]
	v_add_f64 v[44:45], v[46:47], v[44:45]
	v_add_f64 v[46:47], v[74:75], v[66:67]
	;; [unrolled: 1-line block ×3, first 2 shown]
	v_fma_f64 v[72:73], v[64:65], s[10:11], -v[98:99]
	v_fma_f64 v[94:95], v[64:65], s[12:13], -v[94:95]
	;; [unrolled: 1-line block ×3, first 2 shown]
	v_add_f64 v[60:61], v[88:89], v[60:61]
	v_add_f64 v[54:55], v[114:115], v[54:55]
	v_fma_f64 v[74:75], v[64:65], s[6:7], v[42:43]
	v_add_f64 v[62:63], v[62:63], v[82:83]
	v_mul_f64 v[82:83], v[20:21], s[34:35]
	v_fma_f64 v[42:43], v[64:65], s[6:7], -v[42:43]
	v_fma_f64 v[88:89], v[64:65], s[18:19], v[58:59]
	v_add_f64 v[72:73], v[72:73], v[84:85]
	v_fma_f64 v[58:59], v[64:65], s[18:19], -v[58:59]
	v_fma_f64 v[64:65], v[16:17], s[18:19], v[40:41]
	v_mul_f64 v[84:85], v[20:21], s[22:23]
	v_add_f64 v[56:57], v[56:57], v[86:87]
	v_add_f64 v[86:87], v[116:117], v[106:107]
	;; [unrolled: 1-line block ×5, first 2 shown]
	v_fma_f64 v[40:41], v[16:17], s[18:19], -v[40:41]
	v_fma_f64 v[74:75], v[16:17], s[12:13], v[82:83]
	v_add_f64 v[6:7], v[58:59], v[6:7]
	v_add_f64 v[46:47], v[64:65], v[46:47]
	v_mul_f64 v[58:59], v[20:21], s[26:27]
	v_add_f64 v[36:37], v[36:37], -v[38:39]
	v_fma_f64 v[38:39], v[16:17], s[12:13], -v[82:83]
	v_fma_f64 v[64:65], v[16:17], s[6:7], v[84:85]
	v_mul_f64 v[20:21], v[20:21], s[30:31]
	v_add_f64 v[42:43], v[42:43], v[56:57]
	v_add_f64 v[56:57], v[88:89], v[86:87]
	;; [unrolled: 1-line block ×4, first 2 shown]
	v_fma_f64 v[74:75], v[16:17], s[24:25], v[58:59]
	v_fma_f64 v[58:59], v[16:17], s[24:25], -v[58:59]
	v_add_f64 v[18:19], v[22:23], v[18:19]
	v_mul_f64 v[22:23], v[36:37], s[26:27]
	v_add_f64 v[38:39], v[38:39], v[50:51]
	v_add_f64 v[50:51], v[64:65], v[62:63]
	v_fma_f64 v[62:63], v[16:17], s[10:11], v[20:21]
	v_fma_f64 v[66:67], v[16:17], s[6:7], -v[84:85]
	v_fma_f64 v[16:17], v[16:17], s[10:11], -v[20:21]
	v_add_f64 v[42:43], v[58:59], v[42:43]
	v_mul_f64 v[58:59], v[36:37], s[28:29]
	v_fma_f64 v[20:21], v[18:19], s[24:25], v[22:23]
	v_fma_f64 v[22:23], v[18:19], s[24:25], -v[22:23]
	v_add_f64 v[54:55], v[74:75], v[54:55]
	v_add_f64 v[56:57], v[62:63], v[56:57]
	v_mul_f64 v[62:63], v[36:37], s[20:21]
	v_add_f64 v[64:65], v[66:67], v[72:73]
	v_mul_f64 v[66:67], v[36:37], s[30:31]
	;; [unrolled: 2-line block ×3, first 2 shown]
	v_add_f64 v[36:37], v[20:21], v[46:47]
	v_add_f64 v[22:23], v[22:23], v[40:41]
	v_fma_f64 v[20:21], v[18:19], s[6:7], v[58:59]
	v_fma_f64 v[40:41], v[18:19], s[6:7], -v[58:59]
	v_fma_f64 v[46:47], v[18:19], s[18:19], v[62:63]
	v_fma_f64 v[58:59], v[18:19], s[10:11], v[66:67]
	v_fma_f64 v[66:67], v[18:19], s[10:11], -v[66:67]
	v_fma_f64 v[72:73], v[18:19], s[12:13], v[16:17]
	v_fma_f64 v[74:75], v[18:19], s[12:13], -v[16:17]
	v_fma_f64 v[18:19], v[18:19], s[18:19], -v[62:63]
	v_add_f64 v[60:61], v[20:21], v[60:61]
	v_add_f64 v[20:21], v[40:41], v[38:39]
	v_add_f64 v[38:39], v[46:47], v[50:51]
	v_add_f64 v[40:41], v[58:59], v[54:55]
	v_add_f64 v[16:17], v[66:67], v[42:43]
	v_add_f64 v[42:43], v[72:73], v[56:57]
	v_add_f64 v[6:7], v[74:75], v[6:7]
	v_add_f64 v[18:19], v[18:19], v[64:65]
	s_waitcnt lgkmcnt(0)
	s_barrier
	ds_write2_b64 v76, v[44:45], v[36:37] offset1:22
	ds_write2_b64 v76, v[60:61], v[38:39] offset0:44 offset1:66
	ds_write2_b64 v76, v[40:41], v[42:43] offset0:88 offset1:110
	;; [unrolled: 1-line block ×4, first 2 shown]
	ds_write_b64 v76, v[22:23] offset:1760
	s_waitcnt lgkmcnt(0)
	s_barrier
	ds_read2_b64 v[36:39], v79 offset1:242
	ds_read2_b64 v[40:43], v77 offset0:4 offset1:246
	ds_read2_b64 v[44:47], v81 offset0:8 offset1:250
	ds_read_b64 v[54:55], v79 offset:11616
                                        ; implicit-def: $vgpr50_vgpr51
	s_and_saveexec_b64 s[6:7], s[2:3]
	s_cbranch_execz .LBB0_25
; %bb.24:
	v_add_u32_e32 v4, 0x480, v79
	ds_read2_b64 v[16:19], v4 offset0:10 offset1:252
	v_add_u32_e32 v4, 0x13c0, v79
	ds_read2_b64 v[20:23], v4 offset0:6 offset1:248
	;; [unrolled: 2-line block ×3, first 2 shown]
	ds_read_b64 v[50:51], v79 offset:12848
.LBB0_25:
	s_or_b64 exec, exec, s[6:7]
	s_and_saveexec_b64 s[6:7], s[0:1]
	s_cbranch_execz .LBB0_28
; %bb.26:
	v_mul_u32_u24_e32 v56, 6, v78
	v_lshlrev_b32_e32 v76, 4, v56
	global_load_dwordx4 v[56:59], v76, s[8:9] offset:3744
	global_load_dwordx4 v[60:63], v76, s[8:9] offset:3728
	;; [unrolled: 1-line block ×6, first 2 shown]
	v_mul_lo_u32 v76, s5, v70
	v_mul_lo_u32 v77, s4, v71
	v_mad_u64_u32 v[70:71], s[0:1], s4, v70, 0
	v_lshrrev_b32_e32 v79, 1, v78
	s_mov_b32 s26, 0x43b3d5b
	v_add3_u32 v71, v71, v77, v76
	v_mul_hi_u32 v79, v79, s26
	s_movk_i32 s27, 0xf2
	s_mov_b32 s16, 0x37e14327
	s_mov_b32 s17, 0x3fe948f6
	;; [unrolled: 1-line block ×20, first 2 shown]
	v_mov_b32_e32 v99, s15
	s_waitcnt vmcnt(5) lgkmcnt(1)
	v_mul_f64 v[76:77], v[44:45], v[58:59]
	s_waitcnt vmcnt(4)
	v_mul_f64 v[89:90], v[42:43], v[62:63]
	s_waitcnt vmcnt(3)
	;; [unrolled: 2-line block ×4, first 2 shown]
	v_mul_f64 v[95:96], v[38:39], v[83:84]
	s_waitcnt vmcnt(0) lgkmcnt(0)
	v_mul_f64 v[97:98], v[54:55], v[87:88]
	v_mul_f64 v[66:67], v[28:29], v[66:67]
	;; [unrolled: 1-line block ×7, first 2 shown]
	v_fma_f64 v[32:33], v[32:33], v[56:57], -v[76:77]
	v_fma_f64 v[30:31], v[30:31], v[60:61], -v[89:90]
	;; [unrolled: 1-line block ×6, first 2 shown]
	v_fma_f64 v[40:41], v[40:41], v[64:65], v[66:67]
	v_fma_f64 v[46:47], v[46:47], v[72:73], v[74:75]
	;; [unrolled: 1-line block ×5, first 2 shown]
	v_lshrrev_b32_e32 v56, 1, v79
	v_fma_f64 v[42:43], v[42:43], v[60:61], v[62:63]
	v_mul_lo_u32 v79, v56, s27
	v_add_f64 v[56:57], v[32:33], -v[30:31]
	v_add_f64 v[58:59], v[28:29], -v[34:35]
	;; [unrolled: 1-line block ×3, first 2 shown]
	v_add_f64 v[64:65], v[40:41], v[46:47]
	v_add_f64 v[66:67], v[38:39], v[54:55]
	;; [unrolled: 1-line block ×6, first 2 shown]
	v_add_f64 v[32:33], v[44:45], -v[42:43]
	v_add_f64 v[34:35], v[40:41], -v[46:47]
	;; [unrolled: 1-line block ×3, first 2 shown]
	v_add_f64 v[54:55], v[64:65], v[66:67]
	v_add_f64 v[40:41], v[56:57], v[58:59]
	v_add_f64 v[42:43], v[56:57], -v[58:59]
	v_add_f64 v[72:73], v[26:27], -v[30:31]
	v_add_f64 v[74:75], v[28:29], v[26:27]
	v_add_f64 v[46:47], v[62:63], -v[64:65]
	v_add_f64 v[52:53], v[66:67], -v[62:63]
	;; [unrolled: 3-line block ×3, first 2 shown]
	v_add_f64 v[64:65], v[64:65], -v[66:67]
	v_add_f64 v[34:35], v[34:35], -v[38:39]
	v_add_f64 v[54:55], v[62:63], v[54:55]
	v_mul_f64 v[66:67], v[72:73], s[16:17]
	v_add_f64 v[72:73], v[30:31], v[74:75]
	v_add_f64 v[44:45], v[60:61], -v[56:57]
	v_add_f64 v[56:57], v[30:31], -v[28:29]
	;; [unrolled: 1-line block ×4, first 2 shown]
	v_mul_f64 v[42:43], v[42:43], s[6:7]
	v_mul_f64 v[52:53], v[52:53], s[16:17]
	v_add_f64 v[38:39], v[76:77], v[38:39]
	v_mul_f64 v[74:75], v[81:82], s[6:7]
	v_mul_f64 v[76:77], v[58:59], s[18:19]
	v_mul_f64 v[81:82], v[34:35], s[18:19]
	v_add_f64 v[30:31], v[36:37], v[54:55]
	v_add_f64 v[28:29], v[24:25], v[72:73]
	;; [unrolled: 1-line block ×3, first 2 shown]
	v_mul_f64 v[60:61], v[46:47], s[10:11]
	v_mul_f64 v[62:63], v[56:57], s[10:11]
	v_fma_f64 v[83:84], v[44:45], s[4:5], v[42:43]
	v_fma_f64 v[46:47], v[46:47], s[10:11], v[52:53]
	;; [unrolled: 1-line block ×4, first 2 shown]
	v_fma_f64 v[44:45], v[44:45], s[20:21], -v[76:77]
	v_fma_f64 v[52:53], v[64:65], s[22:23], -v[52:53]
	;; [unrolled: 1-line block ×5, first 2 shown]
	v_fma_f64 v[54:55], v[54:55], s[12:13], v[30:31]
	v_fma_f64 v[58:59], v[72:73], s[12:13], v[28:29]
	v_fma_f64 v[60:61], v[64:65], s[24:25], -v[60:61]
	v_fma_f64 v[34:35], v[34:35], s[18:19], -v[74:75]
	;; [unrolled: 1-line block ×3, first 2 shown]
	v_fma_f64 v[62:63], v[40:41], s[0:1], v[83:84]
	v_fma_f64 v[24:25], v[38:39], s[0:1], v[24:25]
	;; [unrolled: 1-line block ×4, first 2 shown]
	v_add_f64 v[74:75], v[46:47], v[54:55]
	v_add_f64 v[76:77], v[36:37], v[58:59]
	;; [unrolled: 1-line block ×4, first 2 shown]
	v_fma_f64 v[44:45], v[40:41], s[0:1], v[42:43]
	v_fma_f64 v[72:73], v[38:39], s[0:1], v[34:35]
	v_add_f64 v[46:47], v[60:61], v[54:55]
	v_add_f64 v[26:27], v[26:27], v[58:59]
	v_lshlrev_b64 v[60:61], 4, v[70:71]
	v_add_f64 v[58:59], v[74:75], -v[62:63]
	v_add_f64 v[38:39], v[64:65], v[52:53]
	v_add_f64 v[36:37], v[56:57], -v[66:67]
	v_add_f64 v[54:55], v[52:53], -v[64:65]
	v_add_f64 v[52:53], v[66:67], v[56:57]
	v_add_f64 v[56:57], v[24:25], v[76:77]
	v_add_f64 v[32:33], v[76:77], -v[24:25]
	v_add_f64 v[42:43], v[46:47], -v[44:45]
	v_add_f64 v[40:41], v[72:73], v[26:27]
	v_add_f64 v[46:47], v[44:45], v[46:47]
	v_add_f64 v[44:45], v[26:27], -v[72:73]
	v_add_co_u32_e32 v26, vcc, s14, v60
	v_lshlrev_b64 v[24:25], 4, v[68:69]
	v_addc_co_u32_e32 v27, vcc, v99, v61, vcc
	v_sub_u32_e32 v70, v78, v79
	v_add_co_u32_e32 v26, vcc, v26, v24
	v_addc_co_u32_e32 v27, vcc, v27, v25, vcc
	v_lshlrev_b32_e32 v24, 4, v70
	v_add_co_u32_e32 v24, vcc, v26, v24
	v_addc_co_u32_e32 v25, vcc, 0, v27, vcc
	s_movk_i32 s14, 0x1000
	global_store_dwordx4 v[24:25], v[28:31], off
	global_store_dwordx4 v[24:25], v[56:59], off offset:3872
	v_add_co_u32_e32 v28, vcc, s14, v24
	v_addc_co_u32_e32 v29, vcc, 0, v25, vcc
	s_movk_i32 s14, 0x2000
	v_add_f64 v[34:35], v[62:63], v[74:75]
	global_store_dwordx4 v[28:29], v[52:55], off offset:3648
	v_add_co_u32_e32 v28, vcc, s14, v24
	v_addc_co_u32_e32 v29, vcc, 0, v25, vcc
	s_movk_i32 s14, 0x3000
	global_store_dwordx4 v[28:29], v[44:47], off offset:3424
	v_add_co_u32_e32 v28, vcc, s14, v24
	v_addc_co_u32_e32 v29, vcc, 0, v25, vcc
	global_store_dwordx4 v[28:29], v[40:43], off offset:3200
	v_add_co_u32_e32 v28, vcc, 0x4000, v24
	v_addc_co_u32_e32 v29, vcc, 0, v25, vcc
	v_add_co_u32_e32 v24, vcc, 0x5000, v24
	v_addc_co_u32_e32 v25, vcc, 0, v25, vcc
	global_store_dwordx4 v[24:25], v[32:35], off offset:2752
	v_add_u32_e32 v24, 0x9a, v78
	v_cmp_gt_u32_e32 vcc, s27, v24
	global_store_dwordx4 v[28:29], v[36:39], off offset:2976
	s_and_b64 exec, exec, vcc
	s_cbranch_execz .LBB0_28
; %bb.27:
	v_add_u32_e32 v25, 0xffffffa8, v78
	v_cndmask_b32_e64 v25, v25, v80, s[2:3]
	v_mul_i32_i24_e32 v56, 6, v25
	v_mov_b32_e32 v57, 0
	v_lshlrev_b64 v[28:29], 4, v[56:57]
	v_mov_b32_e32 v25, s9
	v_add_co_u32_e32 v58, vcc, s8, v28
	v_addc_co_u32_e32 v59, vcc, v25, v29, vcc
	global_load_dwordx4 v[28:31], v[58:59], off offset:3696
	global_load_dwordx4 v[32:35], v[58:59], off offset:3712
	;; [unrolled: 1-line block ×6, first 2 shown]
	v_mov_b32_e32 v25, v57
	v_lshlrev_b64 v[24:25], 4, v[24:25]
	v_add_u32_e32 v56, 0x18c, v78
	v_add_co_u32_e32 v24, vcc, v26, v24
	v_lshlrev_b64 v[58:59], 4, v[56:57]
	v_addc_co_u32_e32 v25, vcc, v27, v25, vcc
	v_add_u32_e32 v56, 0x27e, v78
	v_lshlrev_b64 v[60:61], 4, v[56:57]
	v_add_co_u32_e32 v58, vcc, v26, v58
	v_add_u32_e32 v56, 0x370, v78
	v_addc_co_u32_e32 v59, vcc, v27, v59, vcc
	v_lshlrev_b64 v[62:63], 4, v[56:57]
	v_add_co_u32_e32 v60, vcc, v26, v60
	v_add_u32_e32 v56, 0x462, v78
	v_addc_co_u32_e32 v61, vcc, v27, v61, vcc
	;; [unrolled: 4-line block ×3, first 2 shown]
	v_lshlrev_b64 v[66:67], 4, v[56:57]
	v_add_u32_e32 v56, 0x646, v78
	s_waitcnt vmcnt(5)
	v_mul_f64 v[68:69], v[18:19], v[30:31]
	v_mul_f64 v[30:31], v[10:11], v[30:31]
	s_waitcnt vmcnt(4)
	v_mul_f64 v[70:71], v[20:21], v[34:35]
	v_mul_f64 v[34:35], v[12:13], v[34:35]
	;; [unrolled: 3-line block ×4, first 2 shown]
	v_mul_f64 v[72:73], v[22:23], v[38:39]
	v_mul_f64 v[38:39], v[14:15], v[38:39]
	;; [unrolled: 1-line block ×4, first 2 shown]
	v_fma_f64 v[10:11], v[10:11], v[28:29], -v[68:69]
	v_fma_f64 v[18:19], v[18:19], v[28:29], v[30:31]
	v_fma_f64 v[12:13], v[12:13], v[32:33], -v[70:71]
	v_fma_f64 v[20:21], v[20:21], v[32:33], v[34:35]
	;; [unrolled: 2-line block ×6, first 2 shown]
	v_add_f64 v[32:33], v[10:11], v[28:29]
	v_add_f64 v[34:35], v[18:19], v[30:31]
	v_add_f64 v[10:11], v[10:11], -v[28:29]
	v_add_f64 v[18:19], v[18:19], -v[30:31]
	v_add_f64 v[28:29], v[12:13], v[2:3]
	v_add_f64 v[30:31], v[20:21], v[6:7]
	v_add_f64 v[2:3], v[12:13], -v[2:3]
	v_add_f64 v[6:7], v[20:21], -v[6:7]
	;; [unrolled: 4-line block ×4, first 2 shown]
	v_add_f64 v[32:33], v[32:33], -v[12:13]
	v_add_f64 v[34:35], v[34:35], -v[20:21]
	;; [unrolled: 1-line block ×4, first 2 shown]
	v_add_f64 v[40:41], v[0:1], v[2:3]
	v_add_f64 v[42:43], v[4:5], v[6:7]
	v_add_f64 v[44:45], v[0:1], -v[2:3]
	v_add_f64 v[46:47], v[4:5], -v[6:7]
	v_add_f64 v[12:13], v[12:13], v[14:15]
	v_add_f64 v[14:15], v[20:21], v[22:23]
	v_add_f64 v[50:51], v[2:3], -v[10:11]
	v_add_f64 v[6:7], v[6:7], -v[18:19]
	;; [unrolled: 1-line block ×4, first 2 shown]
	v_add_f64 v[10:11], v[40:41], v[10:11]
	v_add_f64 v[18:19], v[42:43], v[18:19]
	v_mul_f64 v[20:21], v[32:33], s[16:17]
	v_mul_f64 v[22:23], v[34:35], s[16:17]
	;; [unrolled: 1-line block ×6, first 2 shown]
	v_add_f64 v[0:1], v[8:9], v[12:13]
	v_add_f64 v[2:3], v[16:17], v[14:15]
	v_mul_f64 v[44:45], v[50:51], s[18:19]
	v_mul_f64 v[46:47], v[6:7], s[18:19]
	v_fma_f64 v[8:9], v[28:29], s[10:11], v[20:21]
	v_fma_f64 v[16:17], v[30:31], s[10:11], v[22:23]
	v_fma_f64 v[28:29], v[36:37], s[24:25], -v[32:33]
	v_fma_f64 v[30:31], v[38:39], s[24:25], -v[34:35]
	v_fma_f64 v[32:33], v[48:49], s[4:5], v[40:41]
	v_fma_f64 v[34:35], v[4:5], s[4:5], v[42:43]
	;; [unrolled: 1-line block ×4, first 2 shown]
	v_fma_f64 v[20:21], v[36:37], s[22:23], -v[20:21]
	v_fma_f64 v[22:23], v[38:39], s[22:23], -v[22:23]
	;; [unrolled: 1-line block ×6, first 2 shown]
	v_fma_f64 v[32:33], v[10:11], s[0:1], v[32:33]
	v_fma_f64 v[34:35], v[18:19], s[0:1], v[34:35]
	v_add_f64 v[42:43], v[8:9], v[12:13]
	v_add_f64 v[44:45], v[16:17], v[14:15]
	v_fma_f64 v[40:41], v[18:19], s[0:1], v[6:7]
	v_fma_f64 v[38:39], v[10:11], s[0:1], v[38:39]
	;; [unrolled: 1-line block ×3, first 2 shown]
	v_add_f64 v[20:21], v[20:21], v[12:13]
	v_add_f64 v[22:23], v[22:23], v[14:15]
	v_fma_f64 v[36:37], v[10:11], s[0:1], v[36:37]
	v_add_f64 v[16:17], v[28:29], v[12:13]
	v_add_f64 v[28:29], v[30:31], v[14:15]
	global_store_dwordx4 v[24:25], v[0:3], off
	v_add_co_u32_e32 v30, vcc, v26, v64
	v_add_f64 v[0:1], v[34:35], v[42:43]
	v_add_f64 v[2:3], v[44:45], -v[32:33]
	v_add_f64 v[4:5], v[18:19], v[20:21]
	v_add_f64 v[6:7], v[22:23], -v[38:39]
	v_add_f64 v[8:9], v[16:17], -v[40:41]
	v_add_f64 v[10:11], v[36:37], v[28:29]
	v_add_f64 v[12:13], v[40:41], v[16:17]
	v_add_f64 v[16:17], v[20:21], -v[18:19]
	v_add_f64 v[18:19], v[38:39], v[22:23]
	v_add_f64 v[14:15], v[28:29], -v[36:37]
	v_add_f64 v[20:21], v[42:43], -v[34:35]
	v_add_f64 v[22:23], v[32:33], v[44:45]
	v_addc_co_u32_e32 v31, vcc, v27, v65, vcc
	global_store_dwordx4 v[58:59], v[0:3], off
	global_store_dwordx4 v[60:61], v[4:7], off
	;; [unrolled: 1-line block ×4, first 2 shown]
	v_add_co_u32_e32 v0, vcc, v26, v66
	v_addc_co_u32_e32 v1, vcc, v27, v67, vcc
	global_store_dwordx4 v[0:1], v[16:19], off
	v_lshlrev_b64 v[0:1], 4, v[56:57]
	v_add_co_u32_e32 v0, vcc, v26, v0
	v_addc_co_u32_e32 v1, vcc, v27, v1, vcc
	global_store_dwordx4 v[0:1], v[20:23], off
.LBB0_28:
	s_endpgm
	.section	.rodata,"a",@progbits
	.p2align	6, 0x0
	.amdhsa_kernel fft_rtc_fwd_len1694_factors_11_2_11_7_wgs_154_tpt_154_halfLds_dp_op_CI_CI_unitstride_sbrr_dirReg
		.amdhsa_group_segment_fixed_size 0
		.amdhsa_private_segment_fixed_size 0
		.amdhsa_kernarg_size 104
		.amdhsa_user_sgpr_count 6
		.amdhsa_user_sgpr_private_segment_buffer 1
		.amdhsa_user_sgpr_dispatch_ptr 0
		.amdhsa_user_sgpr_queue_ptr 0
		.amdhsa_user_sgpr_kernarg_segment_ptr 1
		.amdhsa_user_sgpr_dispatch_id 0
		.amdhsa_user_sgpr_flat_scratch_init 0
		.amdhsa_user_sgpr_private_segment_size 0
		.amdhsa_uses_dynamic_stack 0
		.amdhsa_system_sgpr_private_segment_wavefront_offset 0
		.amdhsa_system_sgpr_workgroup_id_x 1
		.amdhsa_system_sgpr_workgroup_id_y 0
		.amdhsa_system_sgpr_workgroup_id_z 0
		.amdhsa_system_sgpr_workgroup_info 0
		.amdhsa_system_vgpr_workitem_id 0
		.amdhsa_next_free_vgpr 123
		.amdhsa_next_free_sgpr 42
		.amdhsa_reserve_vcc 1
		.amdhsa_reserve_flat_scratch 0
		.amdhsa_float_round_mode_32 0
		.amdhsa_float_round_mode_16_64 0
		.amdhsa_float_denorm_mode_32 3
		.amdhsa_float_denorm_mode_16_64 3
		.amdhsa_dx10_clamp 1
		.amdhsa_ieee_mode 1
		.amdhsa_fp16_overflow 0
		.amdhsa_exception_fp_ieee_invalid_op 0
		.amdhsa_exception_fp_denorm_src 0
		.amdhsa_exception_fp_ieee_div_zero 0
		.amdhsa_exception_fp_ieee_overflow 0
		.amdhsa_exception_fp_ieee_underflow 0
		.amdhsa_exception_fp_ieee_inexact 0
		.amdhsa_exception_int_div_zero 0
	.end_amdhsa_kernel
	.text
.Lfunc_end0:
	.size	fft_rtc_fwd_len1694_factors_11_2_11_7_wgs_154_tpt_154_halfLds_dp_op_CI_CI_unitstride_sbrr_dirReg, .Lfunc_end0-fft_rtc_fwd_len1694_factors_11_2_11_7_wgs_154_tpt_154_halfLds_dp_op_CI_CI_unitstride_sbrr_dirReg
                                        ; -- End function
	.section	.AMDGPU.csdata,"",@progbits
; Kernel info:
; codeLenInByte = 11268
; NumSgprs: 46
; NumVgprs: 123
; ScratchSize: 0
; MemoryBound: 1
; FloatMode: 240
; IeeeMode: 1
; LDSByteSize: 0 bytes/workgroup (compile time only)
; SGPRBlocks: 5
; VGPRBlocks: 30
; NumSGPRsForWavesPerEU: 46
; NumVGPRsForWavesPerEU: 123
; Occupancy: 2
; WaveLimiterHint : 1
; COMPUTE_PGM_RSRC2:SCRATCH_EN: 0
; COMPUTE_PGM_RSRC2:USER_SGPR: 6
; COMPUTE_PGM_RSRC2:TRAP_HANDLER: 0
; COMPUTE_PGM_RSRC2:TGID_X_EN: 1
; COMPUTE_PGM_RSRC2:TGID_Y_EN: 0
; COMPUTE_PGM_RSRC2:TGID_Z_EN: 0
; COMPUTE_PGM_RSRC2:TIDIG_COMP_CNT: 0
	.type	__hip_cuid_a7e2b284f516828e,@object ; @__hip_cuid_a7e2b284f516828e
	.section	.bss,"aw",@nobits
	.globl	__hip_cuid_a7e2b284f516828e
__hip_cuid_a7e2b284f516828e:
	.byte	0                               ; 0x0
	.size	__hip_cuid_a7e2b284f516828e, 1

	.ident	"AMD clang version 19.0.0git (https://github.com/RadeonOpenCompute/llvm-project roc-6.4.0 25133 c7fe45cf4b819c5991fe208aaa96edf142730f1d)"
	.section	".note.GNU-stack","",@progbits
	.addrsig
	.addrsig_sym __hip_cuid_a7e2b284f516828e
	.amdgpu_metadata
---
amdhsa.kernels:
  - .args:
      - .actual_access:  read_only
        .address_space:  global
        .offset:         0
        .size:           8
        .value_kind:     global_buffer
      - .offset:         8
        .size:           8
        .value_kind:     by_value
      - .actual_access:  read_only
        .address_space:  global
        .offset:         16
        .size:           8
        .value_kind:     global_buffer
      - .actual_access:  read_only
        .address_space:  global
        .offset:         24
        .size:           8
        .value_kind:     global_buffer
      - .actual_access:  read_only
        .address_space:  global
        .offset:         32
        .size:           8
        .value_kind:     global_buffer
      - .offset:         40
        .size:           8
        .value_kind:     by_value
      - .actual_access:  read_only
        .address_space:  global
        .offset:         48
        .size:           8
        .value_kind:     global_buffer
      - .actual_access:  read_only
        .address_space:  global
        .offset:         56
        .size:           8
        .value_kind:     global_buffer
      - .offset:         64
        .size:           4
        .value_kind:     by_value
      - .actual_access:  read_only
        .address_space:  global
        .offset:         72
        .size:           8
        .value_kind:     global_buffer
      - .actual_access:  read_only
        .address_space:  global
        .offset:         80
        .size:           8
        .value_kind:     global_buffer
      - .actual_access:  read_only
        .address_space:  global
        .offset:         88
        .size:           8
        .value_kind:     global_buffer
      - .actual_access:  write_only
        .address_space:  global
        .offset:         96
        .size:           8
        .value_kind:     global_buffer
    .group_segment_fixed_size: 0
    .kernarg_segment_align: 8
    .kernarg_segment_size: 104
    .language:       OpenCL C
    .language_version:
      - 2
      - 0
    .max_flat_workgroup_size: 154
    .name:           fft_rtc_fwd_len1694_factors_11_2_11_7_wgs_154_tpt_154_halfLds_dp_op_CI_CI_unitstride_sbrr_dirReg
    .private_segment_fixed_size: 0
    .sgpr_count:     46
    .sgpr_spill_count: 0
    .symbol:         fft_rtc_fwd_len1694_factors_11_2_11_7_wgs_154_tpt_154_halfLds_dp_op_CI_CI_unitstride_sbrr_dirReg.kd
    .uniform_work_group_size: 1
    .uses_dynamic_stack: false
    .vgpr_count:     123
    .vgpr_spill_count: 0
    .wavefront_size: 64
amdhsa.target:   amdgcn-amd-amdhsa--gfx906
amdhsa.version:
  - 1
  - 2
...

	.end_amdgpu_metadata
